;; amdgpu-corpus repo=ROCm/rocFFT kind=compiled arch=gfx906 opt=O3
	.text
	.amdgcn_target "amdgcn-amd-amdhsa--gfx906"
	.amdhsa_code_object_version 6
	.protected	fft_rtc_back_len260_factors_13_10_2_wgs_52_tpt_26_sp_op_CI_CI_unitstride_sbrr_dirReg ; -- Begin function fft_rtc_back_len260_factors_13_10_2_wgs_52_tpt_26_sp_op_CI_CI_unitstride_sbrr_dirReg
	.globl	fft_rtc_back_len260_factors_13_10_2_wgs_52_tpt_26_sp_op_CI_CI_unitstride_sbrr_dirReg
	.p2align	8
	.type	fft_rtc_back_len260_factors_13_10_2_wgs_52_tpt_26_sp_op_CI_CI_unitstride_sbrr_dirReg,@function
fft_rtc_back_len260_factors_13_10_2_wgs_52_tpt_26_sp_op_CI_CI_unitstride_sbrr_dirReg: ; @fft_rtc_back_len260_factors_13_10_2_wgs_52_tpt_26_sp_op_CI_CI_unitstride_sbrr_dirReg
; %bb.0:
	s_load_dwordx4 s[8:11], s[4:5], 0x58
	s_load_dwordx4 s[12:15], s[4:5], 0x0
	;; [unrolled: 1-line block ×3, first 2 shown]
	v_mul_u32_u24_e32 v1, 0x9d9, v0
	v_lshrrev_b32_e32 v34, 16, v1
	v_mov_b32_e32 v5, 0
	s_waitcnt lgkmcnt(0)
	v_cmp_lt_u64_e64 s[0:1], s[14:15], 2
	v_mov_b32_e32 v32, 0
	v_lshl_add_u32 v7, s6, 1, v34
	v_mov_b32_e32 v8, v5
	s_and_b64 vcc, exec, s[0:1]
	v_mov_b32_e32 v33, 0
	s_cbranch_vccnz .LBB0_8
; %bb.1:
	s_load_dwordx2 s[0:1], s[4:5], 0x10
	s_add_u32 s2, s18, 8
	s_addc_u32 s3, s19, 0
	s_add_u32 s6, s16, 8
	s_addc_u32 s7, s17, 0
	v_mov_b32_e32 v32, 0
	s_waitcnt lgkmcnt(0)
	s_add_u32 s20, s0, 8
	v_mov_b32_e32 v33, 0
	v_mov_b32_e32 v1, v32
	s_addc_u32 s21, s1, 0
	s_mov_b64 s[22:23], 1
	v_mov_b32_e32 v2, v33
.LBB0_2:                                ; =>This Inner Loop Header: Depth=1
	s_load_dwordx2 s[24:25], s[20:21], 0x0
                                        ; implicit-def: $vgpr3_vgpr4
	s_waitcnt lgkmcnt(0)
	v_or_b32_e32 v6, s25, v8
	v_cmp_ne_u64_e32 vcc, 0, v[5:6]
	s_and_saveexec_b64 s[0:1], vcc
	s_xor_b64 s[26:27], exec, s[0:1]
	s_cbranch_execz .LBB0_4
; %bb.3:                                ;   in Loop: Header=BB0_2 Depth=1
	v_cvt_f32_u32_e32 v3, s24
	v_cvt_f32_u32_e32 v4, s25
	s_sub_u32 s0, 0, s24
	s_subb_u32 s1, 0, s25
	v_mac_f32_e32 v3, 0x4f800000, v4
	v_rcp_f32_e32 v3, v3
	v_mul_f32_e32 v3, 0x5f7ffffc, v3
	v_mul_f32_e32 v4, 0x2f800000, v3
	v_trunc_f32_e32 v4, v4
	v_mac_f32_e32 v3, 0xcf800000, v4
	v_cvt_u32_f32_e32 v4, v4
	v_cvt_u32_f32_e32 v3, v3
	v_mul_lo_u32 v6, s0, v4
	v_mul_hi_u32 v9, s0, v3
	v_mul_lo_u32 v11, s1, v3
	v_mul_lo_u32 v10, s0, v3
	v_add_u32_e32 v6, v9, v6
	v_add_u32_e32 v6, v6, v11
	v_mul_hi_u32 v9, v3, v10
	v_mul_lo_u32 v11, v3, v6
	v_mul_hi_u32 v13, v3, v6
	v_mul_hi_u32 v12, v4, v10
	v_mul_lo_u32 v10, v4, v10
	v_mul_hi_u32 v14, v4, v6
	v_add_co_u32_e32 v9, vcc, v9, v11
	v_addc_co_u32_e32 v11, vcc, 0, v13, vcc
	v_mul_lo_u32 v6, v4, v6
	v_add_co_u32_e32 v9, vcc, v9, v10
	v_addc_co_u32_e32 v9, vcc, v11, v12, vcc
	v_addc_co_u32_e32 v10, vcc, 0, v14, vcc
	v_add_co_u32_e32 v6, vcc, v9, v6
	v_addc_co_u32_e32 v9, vcc, 0, v10, vcc
	v_add_co_u32_e32 v3, vcc, v3, v6
	v_addc_co_u32_e32 v4, vcc, v4, v9, vcc
	v_mul_lo_u32 v6, s0, v4
	v_mul_hi_u32 v9, s0, v3
	v_mul_lo_u32 v10, s1, v3
	v_mul_lo_u32 v11, s0, v3
	v_add_u32_e32 v6, v9, v6
	v_add_u32_e32 v6, v6, v10
	v_mul_lo_u32 v12, v3, v6
	v_mul_hi_u32 v13, v3, v11
	v_mul_hi_u32 v14, v3, v6
	;; [unrolled: 1-line block ×3, first 2 shown]
	v_mul_lo_u32 v11, v4, v11
	v_mul_hi_u32 v9, v4, v6
	v_add_co_u32_e32 v12, vcc, v13, v12
	v_addc_co_u32_e32 v13, vcc, 0, v14, vcc
	v_mul_lo_u32 v6, v4, v6
	v_add_co_u32_e32 v11, vcc, v12, v11
	v_addc_co_u32_e32 v10, vcc, v13, v10, vcc
	v_addc_co_u32_e32 v9, vcc, 0, v9, vcc
	v_add_co_u32_e32 v6, vcc, v10, v6
	v_addc_co_u32_e32 v9, vcc, 0, v9, vcc
	v_add_co_u32_e32 v6, vcc, v3, v6
	v_addc_co_u32_e32 v9, vcc, v4, v9, vcc
	v_mad_u64_u32 v[3:4], s[0:1], v7, v9, 0
	v_mul_hi_u32 v10, v7, v6
	v_add_co_u32_e32 v11, vcc, v10, v3
	v_addc_co_u32_e32 v12, vcc, 0, v4, vcc
	v_mad_u64_u32 v[3:4], s[0:1], v8, v6, 0
	v_mad_u64_u32 v[9:10], s[0:1], v8, v9, 0
	v_add_co_u32_e32 v3, vcc, v11, v3
	v_addc_co_u32_e32 v3, vcc, v12, v4, vcc
	v_addc_co_u32_e32 v4, vcc, 0, v10, vcc
	v_add_co_u32_e32 v6, vcc, v3, v9
	v_addc_co_u32_e32 v9, vcc, 0, v4, vcc
	v_mul_lo_u32 v10, s25, v6
	v_mul_lo_u32 v11, s24, v9
	v_mad_u64_u32 v[3:4], s[0:1], s24, v6, 0
	v_add3_u32 v4, v4, v11, v10
	v_sub_u32_e32 v10, v8, v4
	v_mov_b32_e32 v11, s25
	v_sub_co_u32_e32 v3, vcc, v7, v3
	v_subb_co_u32_e64 v10, s[0:1], v10, v11, vcc
	v_subrev_co_u32_e64 v11, s[0:1], s24, v3
	v_subbrev_co_u32_e64 v10, s[0:1], 0, v10, s[0:1]
	v_cmp_le_u32_e64 s[0:1], s25, v10
	v_cndmask_b32_e64 v12, 0, -1, s[0:1]
	v_cmp_le_u32_e64 s[0:1], s24, v11
	v_cndmask_b32_e64 v11, 0, -1, s[0:1]
	v_cmp_eq_u32_e64 s[0:1], s25, v10
	v_cndmask_b32_e64 v10, v12, v11, s[0:1]
	v_add_co_u32_e64 v11, s[0:1], 2, v6
	v_addc_co_u32_e64 v12, s[0:1], 0, v9, s[0:1]
	v_add_co_u32_e64 v13, s[0:1], 1, v6
	v_addc_co_u32_e64 v14, s[0:1], 0, v9, s[0:1]
	v_subb_co_u32_e32 v4, vcc, v8, v4, vcc
	v_cmp_ne_u32_e64 s[0:1], 0, v10
	v_cmp_le_u32_e32 vcc, s25, v4
	v_cndmask_b32_e64 v10, v14, v12, s[0:1]
	v_cndmask_b32_e64 v12, 0, -1, vcc
	v_cmp_le_u32_e32 vcc, s24, v3
	v_cndmask_b32_e64 v3, 0, -1, vcc
	v_cmp_eq_u32_e32 vcc, s25, v4
	v_cndmask_b32_e32 v3, v12, v3, vcc
	v_cmp_ne_u32_e32 vcc, 0, v3
	v_cndmask_b32_e64 v3, v13, v11, s[0:1]
	v_cndmask_b32_e32 v4, v9, v10, vcc
	v_cndmask_b32_e32 v3, v6, v3, vcc
.LBB0_4:                                ;   in Loop: Header=BB0_2 Depth=1
	s_andn2_saveexec_b64 s[0:1], s[26:27]
	s_cbranch_execz .LBB0_6
; %bb.5:                                ;   in Loop: Header=BB0_2 Depth=1
	v_cvt_f32_u32_e32 v3, s24
	s_sub_i32 s26, 0, s24
	v_rcp_iflag_f32_e32 v3, v3
	v_mul_f32_e32 v3, 0x4f7ffffe, v3
	v_cvt_u32_f32_e32 v3, v3
	v_mul_lo_u32 v4, s26, v3
	v_mul_hi_u32 v4, v3, v4
	v_add_u32_e32 v3, v3, v4
	v_mul_hi_u32 v3, v7, v3
	v_mul_lo_u32 v4, v3, s24
	v_add_u32_e32 v6, 1, v3
	v_sub_u32_e32 v4, v7, v4
	v_subrev_u32_e32 v9, s24, v4
	v_cmp_le_u32_e32 vcc, s24, v4
	v_cndmask_b32_e32 v4, v4, v9, vcc
	v_cndmask_b32_e32 v3, v3, v6, vcc
	v_add_u32_e32 v6, 1, v3
	v_cmp_le_u32_e32 vcc, s24, v4
	v_cndmask_b32_e32 v3, v3, v6, vcc
	v_mov_b32_e32 v4, v5
.LBB0_6:                                ;   in Loop: Header=BB0_2 Depth=1
	s_or_b64 exec, exec, s[0:1]
	v_mul_lo_u32 v6, v4, s24
	v_mul_lo_u32 v11, v3, s25
	v_mad_u64_u32 v[9:10], s[0:1], v3, s24, 0
	s_load_dwordx2 s[0:1], s[6:7], 0x0
	s_load_dwordx2 s[24:25], s[2:3], 0x0
	v_add3_u32 v6, v10, v11, v6
	v_sub_co_u32_e32 v7, vcc, v7, v9
	v_subb_co_u32_e32 v6, vcc, v8, v6, vcc
	s_waitcnt lgkmcnt(0)
	v_mul_lo_u32 v8, s0, v6
	v_mul_lo_u32 v9, s1, v7
	v_mad_u64_u32 v[32:33], s[0:1], s0, v7, v[32:33]
	v_mul_lo_u32 v6, s24, v6
	v_mul_lo_u32 v10, s25, v7
	v_mad_u64_u32 v[1:2], s[0:1], s24, v7, v[1:2]
	s_add_u32 s22, s22, 1
	s_addc_u32 s23, s23, 0
	s_add_u32 s2, s2, 8
	v_add3_u32 v2, v10, v2, v6
	s_addc_u32 s3, s3, 0
	v_mov_b32_e32 v6, s14
	s_add_u32 s6, s6, 8
	v_mov_b32_e32 v7, s15
	s_addc_u32 s7, s7, 0
	v_cmp_ge_u64_e32 vcc, s[22:23], v[6:7]
	s_add_u32 s20, s20, 8
	v_add3_u32 v33, v9, v33, v8
	s_addc_u32 s21, s21, 0
	s_cbranch_vccnz .LBB0_9
; %bb.7:                                ;   in Loop: Header=BB0_2 Depth=1
	v_mov_b32_e32 v8, v4
	v_mov_b32_e32 v7, v3
	s_branch .LBB0_2
.LBB0_8:
	v_mov_b32_e32 v1, v32
	v_mov_b32_e32 v3, v7
	;; [unrolled: 1-line block ×4, first 2 shown]
.LBB0_9:
	s_load_dwordx2 s[0:1], s[4:5], 0x28
	s_mov_b32 s4, 0x9d89d8a
	v_mul_hi_u32 v5, v0, s4
	s_lshl_b64 s[2:3], s[14:15], 3
	s_add_u32 s4, s18, s2
	s_waitcnt lgkmcnt(0)
	v_cmp_gt_u64_e32 vcc, s[0:1], v[3:4]
	v_mul_u32_u24_e32 v5, 26, v5
	v_sub_u32_e32 v5, v0, v5
	v_cmp_gt_u32_e64 s[0:1], 20, v5
	s_addc_u32 s5, s19, s3
	s_and_b64 s[14:15], vcc, s[0:1]
	v_mov_b32_e32 v7, 0
	v_mov_b32_e32 v6, 0
                                        ; implicit-def: $vgpr9
                                        ; implicit-def: $vgpr11
                                        ; implicit-def: $vgpr13
                                        ; implicit-def: $vgpr15
                                        ; implicit-def: $vgpr19
                                        ; implicit-def: $vgpr25
                                        ; implicit-def: $vgpr17
                                        ; implicit-def: $vgpr21
                                        ; implicit-def: $vgpr23
                                        ; implicit-def: $vgpr27
                                        ; implicit-def: $vgpr29
                                        ; implicit-def: $vgpr31
	s_and_saveexec_b64 s[6:7], s[14:15]
	s_cbranch_execz .LBB0_11
; %bb.10:
	s_add_u32 s2, s16, s2
	s_addc_u32 s3, s17, s3
	s_load_dwordx2 s[2:3], s[2:3], 0x0
	v_mov_b32_e32 v10, s9
	v_mov_b32_e32 v6, 0
	s_waitcnt lgkmcnt(0)
	v_mul_lo_u32 v0, s3, v3
	v_mul_lo_u32 v9, s2, v4
	v_mad_u64_u32 v[7:8], s[2:3], s2, v3, 0
	v_add3_u32 v8, v8, v9, v0
	v_lshlrev_b64 v[7:8], 3, v[7:8]
	v_add_co_u32_e64 v0, s[2:3], s8, v7
	v_addc_co_u32_e64 v9, s[2:3], v10, v8, s[2:3]
	v_lshlrev_b64 v[7:8], 3, v[32:33]
	v_add_co_u32_e64 v0, s[2:3], v0, v7
	v_lshlrev_b64 v[6:7], 3, v[5:6]
	v_addc_co_u32_e64 v8, s[2:3], v9, v8, s[2:3]
	v_add_co_u32_e64 v32, s[2:3], v0, v6
	v_addc_co_u32_e64 v33, s[2:3], v8, v7, s[2:3]
	global_load_dwordx2 v[6:7], v[32:33], off
	global_load_dwordx2 v[8:9], v[32:33], off offset:160
	global_load_dwordx2 v[10:11], v[32:33], off offset:320
	;; [unrolled: 1-line block ×12, first 2 shown]
.LBB0_11:
	s_or_b64 exec, exec, s[6:7]
	v_and_b32_e32 v0, 1, v34
	v_mov_b32_e32 v32, 0x104
	v_cmp_eq_u32_e64 s[2:3], 1, v0
	v_cndmask_b32_e64 v0, 0, v32, s[2:3]
	v_lshlrev_b32_e32 v0, 3, v0
	s_and_saveexec_b64 s[2:3], s[0:1]
	s_cbranch_execz .LBB0_13
; %bb.12:
	s_waitcnt vmcnt(11)
	v_add_f32_e32 v34, v6, v8
	v_add_f32_e32 v33, v7, v9
	s_waitcnt vmcnt(10)
	v_add_f32_e32 v34, v34, v10
	v_add_f32_e32 v33, v33, v11
	;; [unrolled: 3-line block ×6, first 2 shown]
	s_waitcnt vmcnt(5)
	v_sub_f32_e32 v35, v24, v30
	v_add_f32_e32 v36, v24, v30
	v_add_f32_e32 v30, v34, v30
	;; [unrolled: 1-line block ×3, first 2 shown]
	v_sub_f32_e32 v24, v25, v31
	v_add_f32_e32 v25, v33, v31
	s_waitcnt vmcnt(4)
	v_add_f32_e32 v33, v19, v29
	v_sub_f32_e32 v37, v19, v29
	v_add_f32_e32 v19, v28, v30
	v_sub_f32_e32 v31, v18, v28
	v_add_f32_e32 v34, v18, v28
	v_add_f32_e32 v18, v29, v25
	s_waitcnt vmcnt(3)
	v_add_f32_e32 v38, v15, v27
	v_sub_f32_e32 v28, v15, v27
	v_add_f32_e32 v15, v26, v19
	v_sub_f32_e32 v25, v14, v26
	v_add_f32_e32 v39, v14, v26
	;; [unrolled: 7-line block ×4, first 2 shown]
	s_waitcnt vmcnt(0)
	v_sub_f32_e32 v20, v8, v16
	v_add_f32_e32 v10, v21, v12
	v_add_f32_e32 v44, v9, v17
	v_mul_f32_e32 v29, 0xbe750f2a, v20
	s_mov_b32 s0, 0xbf788fa5
	v_sub_f32_e32 v21, v9, v17
	v_add_f32_e32 v9, v17, v10
	v_fma_f32 v10, v44, s0, -v29
	s_mov_b32 s8, 0x3f62ad3f
	v_mul_f32_e32 v30, 0x3eedf032, v22
	v_add_f32_e32 v45, v8, v16
	v_add_f32_e32 v8, v16, v11
	;; [unrolled: 1-line block ×3, first 2 shown]
	v_fma_f32 v11, v42, s8, -v30
	s_mov_b32 s1, 0xbf3f9e67
	v_mul_f32_e32 v46, 0xbf29c268, v26
	v_add_f32_e32 v10, v10, v11
	v_fma_f32 v11, v40, s1, -v46
	s_mov_b32 s6, 0x3f116cb1
	v_mul_f32_e32 v47, 0x3f52af12, v25
	v_add_f32_e32 v10, v10, v11
	;; [unrolled: 4-line block ×3, first 2 shown]
	v_fma_f32 v11, v33, s7, -v48
	v_mul_f32_e32 v49, 0xbe750f2a, v21
	v_add_f32_e32 v10, v10, v11
	v_mov_b32_e32 v11, v49
	v_mul_f32_e32 v50, 0x3eedf032, v23
	v_fmac_f32_e32 v11, 0xbf788fa5, v45
	v_mov_b32_e32 v12, v50
	v_add_f32_e32 v11, v6, v11
	v_fmac_f32_e32 v12, 0x3f62ad3f, v43
	v_mul_f32_e32 v51, 0xbf29c268, v27
	v_add_f32_e32 v11, v11, v12
	v_mov_b32_e32 v12, v51
	v_fmac_f32_e32 v12, 0xbf3f9e67, v41
	v_mul_f32_e32 v52, 0x3f52af12, v28
	v_add_f32_e32 v11, v11, v12
	v_mov_b32_e32 v12, v52
	;; [unrolled: 4-line block ×3, first 2 shown]
	v_fmac_f32_e32 v12, 0xbeb58ec6, v34
	s_mov_b32 s9, 0x3df6dbef
	v_mul_f32_e32 v54, 0x3f7e222b, v35
	v_add_f32_e32 v12, v11, v12
	v_fma_f32 v11, v32, s9, -v54
	v_mul_f32_e32 v55, 0x3f7e222b, v24
	v_add_f32_e32 v11, v10, v11
	v_mov_b32_e32 v10, v55
	v_fmac_f32_e32 v10, 0x3df6dbef, v36
	v_mul_f32_e32 v56, 0xbf29c268, v20
	v_add_f32_e32 v10, v12, v10
	v_fma_f32 v12, v44, s1, -v56
	v_mul_f32_e32 v57, 0x3f7e222b, v22
	v_add_f32_e32 v12, v7, v12
	v_fma_f32 v13, v42, s9, -v57
	v_mul_f32_e32 v58, 0xbf52af12, v26
	v_add_f32_e32 v12, v12, v13
	v_fma_f32 v13, v40, s6, -v58
	v_mul_f32_e32 v59, 0x3e750f2a, v25
	v_add_f32_e32 v12, v12, v13
	v_fma_f32 v13, v38, s0, -v59
	v_mul_f32_e32 v60, 0x3eedf032, v31
	v_add_f32_e32 v12, v12, v13
	v_fma_f32 v13, v33, s8, -v60
	v_mul_f32_e32 v61, 0xbf29c268, v21
	v_add_f32_e32 v12, v12, v13
	v_mov_b32_e32 v13, v61
	v_mul_f32_e32 v62, 0x3f7e222b, v23
	v_fmac_f32_e32 v13, 0xbf3f9e67, v45
	v_mov_b32_e32 v14, v62
	v_add_f32_e32 v13, v6, v13
	v_fmac_f32_e32 v14, 0x3df6dbef, v43
	v_mul_f32_e32 v63, 0xbf52af12, v27
	v_add_f32_e32 v13, v13, v14
	v_mov_b32_e32 v14, v63
	v_fmac_f32_e32 v14, 0x3f116cb1, v41
	v_mul_f32_e32 v64, 0x3e750f2a, v28
	v_add_f32_e32 v13, v13, v14
	v_mov_b32_e32 v14, v64
	v_fmac_f32_e32 v14, 0xbf788fa5, v39
	v_mul_f32_e32 v65, 0x3eedf032, v37
	v_add_f32_e32 v13, v13, v14
	v_mov_b32_e32 v14, v65
	v_fmac_f32_e32 v14, 0x3f62ad3f, v34
	v_mul_f32_e32 v66, 0xbf6f5d39, v35
	v_add_f32_e32 v14, v13, v14
	v_fma_f32 v13, v32, s7, -v66
	v_mul_f32_e32 v67, 0xbf6f5d39, v24
	v_add_f32_e32 v13, v12, v13
	v_mov_b32_e32 v12, v67
	v_fmac_f32_e32 v12, 0xbeb58ec6, v36
	v_mul_f32_e32 v68, 0xbf6f5d39, v20
	v_add_f32_e32 v12, v14, v12
	v_fma_f32 v14, v44, s7, -v68
	v_mul_f32_e32 v69, 0x3f29c268, v22
	v_add_f32_e32 v14, v7, v14
	v_fma_f32 v15, v42, s1, -v69
	v_mul_f32_e32 v70, 0x3eedf032, v26
	v_add_f32_e32 v14, v14, v15
	v_fma_f32 v15, v40, s8, -v70
	v_mul_f32_e32 v71, 0xbf7e222b, v25
	v_add_f32_e32 v14, v14, v15
	v_fma_f32 v15, v38, s9, -v71
	v_mul_f32_e32 v72, 0x3e750f2a, v31
	v_add_f32_e32 v14, v14, v15
	v_fma_f32 v15, v33, s0, -v72
	v_mul_f32_e32 v73, 0xbf6f5d39, v21
	v_add_f32_e32 v14, v14, v15
	v_mov_b32_e32 v15, v73
	v_mul_f32_e32 v74, 0x3f29c268, v23
	v_fmac_f32_e32 v15, 0xbeb58ec6, v45
	v_mov_b32_e32 v16, v74
	v_add_f32_e32 v15, v6, v15
	v_fmac_f32_e32 v16, 0xbf3f9e67, v43
	v_mul_f32_e32 v75, 0x3eedf032, v27
	v_add_f32_e32 v15, v15, v16
	v_mov_b32_e32 v16, v75
	v_fmac_f32_e32 v16, 0x3f62ad3f, v41
	v_mul_f32_e32 v76, 0xbf7e222b, v28
	v_add_f32_e32 v15, v15, v16
	v_mov_b32_e32 v16, v76
	v_fmac_f32_e32 v16, 0x3df6dbef, v39
	v_mul_f32_e32 v77, 0x3e750f2a, v37
	v_add_f32_e32 v15, v15, v16
	v_mov_b32_e32 v16, v77
	v_fmac_f32_e32 v16, 0xbf788fa5, v34
	;; [unrolled: 42-line block ×3, first 2 shown]
	v_mul_f32_e32 v90, 0xbf29c268, v35
	v_add_f32_e32 v18, v17, v18
	v_fma_f32 v17, v32, s1, -v90
	v_mul_f32_e32 v91, 0xbf29c268, v24
	v_add_f32_e32 v17, v16, v17
	v_mov_b32_e32 v16, v91
	v_fmac_f32_e32 v16, 0xbf3f9e67, v36
	v_mul_f32_e32 v92, 0xbf52af12, v20
	v_add_f32_e32 v16, v18, v16
	v_fma_f32 v18, v44, s6, -v92
	v_mul_f32_e32 v93, 0xbf6f5d39, v22
	v_add_f32_e32 v18, v7, v18
	v_fma_f32 v19, v42, s7, -v93
	;; [unrolled: 3-line block ×5, first 2 shown]
	v_mul_f32_e32 v97, 0xbf52af12, v21
	v_add_f32_e32 v18, v18, v19
	v_mov_b32_e32 v19, v97
	v_mul_f32_e32 v98, 0xbf6f5d39, v23
	v_fmac_f32_e32 v19, 0x3f116cb1, v45
	v_mov_b32_e32 v99, v98
	v_add_f32_e32 v19, v6, v19
	v_fmac_f32_e32 v99, 0xbeb58ec6, v43
	v_add_f32_e32 v19, v19, v99
	v_mul_f32_e32 v99, 0xbe750f2a, v27
	v_mov_b32_e32 v100, v99
	v_fmac_f32_e32 v100, 0xbf788fa5, v41
	v_add_f32_e32 v19, v19, v100
	v_mul_f32_e32 v100, 0x3f29c268, v28
	v_mov_b32_e32 v101, v100
	;; [unrolled: 4-line block ×3, first 2 shown]
	v_fmac_f32_e32 v102, 0x3df6dbef, v34
	v_mul_f32_e32 v103, 0x3eedf032, v35
	v_add_f32_e32 v102, v19, v102
	v_fma_f32 v19, v32, s8, -v103
	v_mul_f32_e32 v104, 0x3eedf032, v24
	v_add_f32_e32 v19, v18, v19
	v_mov_b32_e32 v18, v104
	v_fmac_f32_e32 v18, 0x3f62ad3f, v36
	v_add_f32_e32 v18, v102, v18
	v_mul_f32_e32 v102, 0xbeedf032, v20
	v_fma_f32 v20, v44, s8, -v102
	v_mul_f32_e32 v105, 0xbf52af12, v22
	v_add_f32_e32 v20, v7, v20
	v_fma_f32 v22, v42, s6, -v105
	v_mul_f32_e32 v106, 0xbf7e222b, v26
	v_add_f32_e32 v20, v20, v22
	v_fma_f32 v22, v40, s9, -v106
	v_mul_f32_e32 v107, 0xbf6f5d39, v25
	v_add_f32_e32 v20, v20, v22
	v_fma_f32 v22, v38, s7, -v107
	v_mul_f32_e32 v108, 0xbf29c268, v31
	v_mul_f32_e32 v109, 0xbeedf032, v21
	v_add_f32_e32 v20, v20, v22
	v_fma_f32 v22, v33, s1, -v108
	v_mov_b32_e32 v21, v109
	v_mul_f32_e32 v110, 0xbf52af12, v23
	v_add_f32_e32 v20, v20, v22
	v_fmac_f32_e32 v21, 0x3f62ad3f, v45
	v_mov_b32_e32 v22, v110
	v_add_f32_e32 v21, v6, v21
	v_fmac_f32_e32 v22, 0x3f116cb1, v43
	v_mul_f32_e32 v111, 0xbf7e222b, v27
	v_add_f32_e32 v21, v21, v22
	v_mov_b32_e32 v22, v111
	v_fmac_f32_e32 v22, 0x3df6dbef, v41
	v_mul_f32_e32 v112, 0xbf6f5d39, v28
	v_add_f32_e32 v21, v21, v22
	v_mov_b32_e32 v22, v112
	;; [unrolled: 4-line block ×3, first 2 shown]
	v_fmac_f32_e32 v22, 0xbf3f9e67, v34
	v_mul_f32_e32 v35, 0xbe750f2a, v35
	v_add_f32_e32 v22, v21, v22
	v_fma_f32 v21, v32, s0, -v35
	v_mul_f32_e32 v113, 0xbe750f2a, v24
	v_add_f32_e32 v21, v20, v21
	v_mov_b32_e32 v20, v113
	v_fmac_f32_e32 v20, 0xbf788fa5, v36
	v_fmac_f32_e32 v29, 0xbf788fa5, v44
	v_add_f32_e32 v20, v22, v20
	v_add_f32_e32 v22, v7, v29
	v_fmac_f32_e32 v30, 0x3f62ad3f, v42
	v_fma_f32 v23, v45, s0, -v49
	v_add_f32_e32 v22, v22, v30
	v_fmac_f32_e32 v46, 0xbf3f9e67, v40
	v_add_f32_e32 v23, v6, v23
	v_fma_f32 v24, v43, s8, -v50
	v_add_f32_e32 v22, v22, v46
	v_fmac_f32_e32 v47, 0x3f116cb1, v38
	v_add_f32_e32 v23, v23, v24
	v_fma_f32 v24, v41, s1, -v51
	v_add_f32_e32 v22, v22, v47
	v_fmac_f32_e32 v48, 0xbeb58ec6, v33
	v_add_f32_e32 v23, v23, v24
	v_fma_f32 v24, v39, s6, -v52
	v_add_f32_e32 v22, v22, v48
	v_add_f32_e32 v23, v23, v24
	v_fma_f32 v24, v34, s7, -v53
	v_fmac_f32_e32 v54, 0x3df6dbef, v32
	v_add_f32_e32 v24, v23, v24
	v_add_f32_e32 v23, v22, v54
	v_fma_f32 v22, v36, s9, -v55
	v_fmac_f32_e32 v56, 0xbf3f9e67, v44
	v_add_f32_e32 v22, v24, v22
	v_add_f32_e32 v24, v7, v56
	v_fmac_f32_e32 v57, 0x3df6dbef, v42
	v_fma_f32 v25, v45, s1, -v61
	v_add_f32_e32 v24, v24, v57
	v_fmac_f32_e32 v58, 0x3f116cb1, v40
	v_add_f32_e32 v25, v6, v25
	v_fma_f32 v26, v43, s9, -v62
	v_add_f32_e32 v24, v24, v58
	v_fmac_f32_e32 v59, 0xbf788fa5, v38
	v_add_f32_e32 v25, v25, v26
	v_fma_f32 v26, v41, s6, -v63
	v_add_f32_e32 v24, v24, v59
	v_fmac_f32_e32 v60, 0x3f62ad3f, v33
	v_add_f32_e32 v25, v25, v26
	v_fma_f32 v26, v39, s0, -v64
	v_add_f32_e32 v24, v24, v60
	v_add_f32_e32 v25, v25, v26
	v_fma_f32 v26, v34, s8, -v65
	v_fmac_f32_e32 v66, 0xbeb58ec6, v32
	v_add_f32_e32 v26, v25, v26
	v_add_f32_e32 v25, v24, v66
	v_fma_f32 v24, v36, s7, -v67
	;; [unrolled: 24-line block ×3, first 2 shown]
	v_fmac_f32_e32 v80, 0x3df6dbef, v44
	v_add_f32_e32 v26, v28, v26
	v_add_f32_e32 v28, v7, v80
	v_fmac_f32_e32 v81, 0xbf788fa5, v42
	v_fma_f32 v29, v45, s9, -v85
	v_add_f32_e32 v28, v28, v81
	v_fmac_f32_e32 v82, 0xbeb58ec6, v40
	v_add_f32_e32 v29, v6, v29
	v_fma_f32 v30, v43, s0, -v86
	v_add_f32_e32 v28, v28, v82
	v_fmac_f32_e32 v83, 0x3f62ad3f, v38
	v_add_f32_e32 v29, v29, v30
	;; [unrolled: 4-line block ×3, first 2 shown]
	v_fma_f32 v30, v39, s8, -v88
	v_add_f32_e32 v28, v28, v84
	v_add_f32_e32 v29, v29, v30
	v_fma_f32 v30, v34, s6, -v89
	v_fmac_f32_e32 v90, 0xbf3f9e67, v32
	v_fmac_f32_e32 v92, 0x3f116cb1, v44
	v_fma_f32 v31, v45, s6, -v97
	v_fmac_f32_e32 v102, 0x3f62ad3f, v44
	v_fma_f32 v44, v45, s8, -v109
	v_add_f32_e32 v30, v29, v30
	v_add_f32_e32 v29, v28, v90
	v_fma_f32 v28, v36, s1, -v91
	v_add_f32_e32 v31, v6, v31
	v_fmac_f32_e32 v103, 0x3f62ad3f, v32
	v_add_f32_e32 v6, v6, v44
	v_fmac_f32_e32 v35, 0xbf788fa5, v32
	v_fma_f32 v32, v43, s6, -v110
	v_add_f32_e32 v28, v30, v28
	v_add_f32_e32 v30, v7, v92
	v_fmac_f32_e32 v93, 0xbeb58ec6, v42
	v_add_f32_e32 v6, v6, v32
	v_fma_f32 v32, v41, s9, -v111
	v_add_f32_e32 v30, v30, v93
	v_fmac_f32_e32 v94, 0xbf788fa5, v40
	v_fma_f32 v46, v43, s7, -v98
	v_add_f32_e32 v7, v7, v102
	v_fmac_f32_e32 v105, 0x3f116cb1, v42
	v_add_f32_e32 v6, v6, v32
	v_fma_f32 v32, v39, s7, -v112
	v_add_f32_e32 v30, v30, v94
	v_fmac_f32_e32 v95, 0xbf3f9e67, v38
	v_add_f32_e32 v31, v31, v46
	;; [unrolled: 4-line block ×5, first 2 shown]
	v_fma_f32 v32, v36, s0, -v113
	v_add_f32_e32 v30, v30, v96
	v_add_f32_e32 v31, v31, v46
	v_fma_f32 v46, v34, s9, -v101
	v_add_f32_e32 v7, v7, v107
	v_fmac_f32_e32 v108, 0xbf3f9e67, v33
	v_add_f32_e32 v6, v6, v32
	v_mul_u32_u24_e32 v32, 0x68, v5
	v_add_f32_e32 v46, v31, v46
	v_add_f32_e32 v31, v30, v103
	v_fma_f32 v30, v36, s8, -v104
	v_add_f32_e32 v7, v7, v108
	v_add3_u32 v32, 0, v32, v0
	v_add_f32_e32 v30, v46, v30
	v_add_f32_e32 v7, v7, v35
	ds_write2_b64 v32, v[8:9], v[20:21] offset1:1
	ds_write2_b64 v32, v[18:19], v[16:17] offset0:2 offset1:3
	ds_write2_b64 v32, v[14:15], v[12:13] offset0:4 offset1:5
	;; [unrolled: 1-line block ×5, first 2 shown]
	ds_write_b64 v32, v[6:7] offset:96
.LBB0_13:
	s_or_b64 exec, exec, s[2:3]
	s_waitcnt vmcnt(12)
	v_add_u32_e32 v6, -13, v5
	v_cmp_gt_u32_e64 s[0:1], 13, v5
	v_cndmask_b32_e64 v48, v6, v5, s[0:1]
	v_mul_i32_i24_e32 v6, 9, v48
	v_mov_b32_e32 v7, 0
	s_waitcnt vmcnt(11)
	v_lshlrev_b64 v[8:9], 3, v[6:7]
	v_mov_b32_e32 v6, s13
	v_add_co_u32_e64 v8, s[0:1], s12, v8
	v_addc_co_u32_e64 v9, s[0:1], v6, v9, s[0:1]
	s_load_dwordx2 s[2:3], s[4:5], 0x0
	s_waitcnt lgkmcnt(0)
	; wave barrier
	s_waitcnt lgkmcnt(0)
	global_load_dwordx4 v[10:13], v[8:9], off
	global_load_dwordx4 v[14:17], v[8:9], off offset:16
	global_load_dwordx4 v[18:21], v[8:9], off offset:32
	;; [unrolled: 1-line block ×3, first 2 shown]
	global_load_dwordx2 v[42:43], v[8:9], off offset:64
	v_lshlrev_b32_e32 v6, 3, v5
	v_add3_u32 v9, 0, v6, v0
	v_add3_u32 v8, 0, v0, v6
	s_waitcnt vmcnt(8)
	ds_read2_b64 v[26:29], v9 offset0:26 offset1:52
	ds_read2_b64 v[30:33], v9 offset0:78 offset1:104
	;; [unrolled: 1-line block ×4, first 2 shown]
	ds_read_b64 v[44:45], v8
	ds_read_b64 v[46:47], v9 offset:1872
	v_cmp_lt_u32_e64 s[0:1], 12, v5
	s_waitcnt lgkmcnt(0)
	; wave barrier
	s_waitcnt vmcnt(4) lgkmcnt(0)
	v_mul_f32_e32 v49, v13, v29
	v_mul_f32_e32 v6, v11, v27
	;; [unrolled: 1-line block ×4, first 2 shown]
	s_waitcnt vmcnt(3)
	v_mul_f32_e32 v51, v17, v33
	s_waitcnt vmcnt(2)
	v_mul_f32_e32 v52, v19, v35
	v_mul_f32_e32 v19, v19, v34
	v_fmac_f32_e32 v49, v12, v28
	v_mul_f32_e32 v53, v37, v21
	s_waitcnt vmcnt(1)
	v_mul_f32_e32 v55, v41, v25
	v_fmac_f32_e32 v6, v10, v26
	v_fma_f32 v26, v10, v27, -v11
	v_fma_f32 v10, v12, v29, -v13
	v_fmac_f32_e32 v51, v16, v32
	v_fmac_f32_e32 v52, v18, v34
	v_fma_f32 v13, v18, v35, -v19
	v_add_f32_e32 v18, v44, v49
	v_mul_f32_e32 v50, v15, v31
	v_mul_f32_e32 v15, v15, v30
	v_mul_f32_e32 v17, v17, v32
	v_mul_f32_e32 v54, v39, v23
	v_mul_f32_e32 v23, v38, v23
	v_mul_f32_e32 v25, v40, v25
	v_fmac_f32_e32 v53, v36, v20
	v_fmac_f32_e32 v55, v40, v24
	v_add_f32_e32 v18, v18, v51
	v_fma_f32 v11, v14, v31, -v15
	v_fma_f32 v12, v16, v33, -v17
	v_fmac_f32_e32 v54, v38, v22
	v_fma_f32 v15, v39, v22, -v23
	v_fma_f32 v16, v41, v24, -v25
	v_add_f32_e32 v19, v51, v53
	v_sub_f32_e32 v22, v49, v51
	v_sub_f32_e32 v23, v55, v53
	;; [unrolled: 1-line block ×4, first 2 shown]
	v_add_f32_e32 v18, v18, v53
	v_mul_f32_e32 v21, v36, v21
	v_add_f32_e32 v24, v49, v55
	v_fma_f32 v28, -0.5, v19, v44
	v_add_f32_e32 v19, v22, v23
	v_add_f32_e32 v22, v25, v27
	;; [unrolled: 1-line block ×4, first 2 shown]
	v_fmac_f32_e32 v50, v14, v30
	v_fma_f32 v14, v37, v20, -v21
	v_sub_f32_e32 v20, v10, v16
	v_fma_f32 v23, -0.5, v24, v44
	v_mov_b32_e32 v24, v28
	v_add_f32_e32 v18, v18, v12
	v_sub_f32_e32 v21, v12, v14
	v_fmac_f32_e32 v28, 0x3f737871, v20
	v_mov_b32_e32 v25, v23
	v_fmac_f32_e32 v24, 0xbf737871, v20
	v_add_f32_e32 v18, v18, v14
	v_fmac_f32_e32 v23, 0xbf737871, v21
	v_fmac_f32_e32 v28, 0x3f167918, v21
	;; [unrolled: 1-line block ×4, first 2 shown]
	v_add_f32_e32 v21, v18, v16
	v_add_f32_e32 v18, v12, v14
	v_fma_f32 v29, -0.5, v18, v45
	v_fmac_f32_e32 v23, 0x3f167918, v20
	v_fmac_f32_e32 v25, 0xbf167918, v20
	v_sub_f32_e32 v18, v49, v55
	v_mov_b32_e32 v30, v29
	v_fmac_f32_e32 v28, 0x3e9e377a, v19
	v_fmac_f32_e32 v23, 0x3e9e377a, v22
	;; [unrolled: 1-line block ×5, first 2 shown]
	v_sub_f32_e32 v19, v51, v53
	v_sub_f32_e32 v20, v10, v12
	;; [unrolled: 1-line block ×3, first 2 shown]
	v_fmac_f32_e32 v29, 0xbf737871, v18
	v_fmac_f32_e32 v30, 0x3f167918, v19
	v_add_f32_e32 v20, v20, v22
	v_fmac_f32_e32 v29, 0xbf167918, v19
	v_fmac_f32_e32 v30, 0x3e9e377a, v20
	;; [unrolled: 1-line block ×3, first 2 shown]
	v_add_f32_e32 v20, v10, v16
	v_fmac_f32_e32 v45, -0.5, v20
	v_mov_b32_e32 v31, v45
	v_fmac_f32_e32 v31, 0xbf737871, v19
	v_sub_f32_e32 v10, v12, v10
	v_sub_f32_e32 v12, v14, v16
	v_fmac_f32_e32 v45, 0x3f737871, v19
	v_fmac_f32_e32 v31, 0x3f167918, v18
	v_add_f32_e32 v10, v10, v12
	v_fmac_f32_e32 v45, 0xbf167918, v18
	v_fmac_f32_e32 v31, 0x3e9e377a, v10
	;; [unrolled: 1-line block ×3, first 2 shown]
	v_add_f32_e32 v10, v6, v50
	s_waitcnt vmcnt(0)
	v_mul_f32_e32 v56, v47, v43
	v_add_f32_e32 v10, v10, v52
	v_fmac_f32_e32 v56, v46, v42
	v_add_f32_e32 v10, v10, v54
	v_mul_f32_e32 v43, v46, v43
	v_add_f32_e32 v20, v10, v56
	v_add_f32_e32 v10, v52, v54
	v_fma_f32 v17, v47, v42, -v43
	v_fma_f32 v19, -0.5, v10, v6
	v_sub_f32_e32 v10, v11, v17
	v_mov_b32_e32 v22, v19
	v_fmac_f32_e32 v22, 0xbf737871, v10
	v_sub_f32_e32 v12, v13, v15
	v_sub_f32_e32 v14, v50, v52
	;; [unrolled: 1-line block ×3, first 2 shown]
	v_fmac_f32_e32 v19, 0x3f737871, v10
	v_fmac_f32_e32 v22, 0xbf167918, v12
	v_add_f32_e32 v14, v14, v16
	v_fmac_f32_e32 v19, 0x3f167918, v12
	v_fmac_f32_e32 v22, 0x3e9e377a, v14
	;; [unrolled: 1-line block ×3, first 2 shown]
	v_add_f32_e32 v14, v50, v56
	v_fmac_f32_e32 v6, -0.5, v14
	v_mov_b32_e32 v32, v6
	v_fmac_f32_e32 v32, 0x3f737871, v12
	v_fmac_f32_e32 v6, 0xbf737871, v12
	;; [unrolled: 1-line block ×4, first 2 shown]
	v_add_f32_e32 v10, v26, v11
	v_add_f32_e32 v10, v10, v13
	;; [unrolled: 1-line block ×5, first 2 shown]
	v_sub_f32_e32 v14, v52, v50
	v_sub_f32_e32 v16, v54, v56
	v_fma_f32 v34, -0.5, v10, v26
	v_add_f32_e32 v14, v14, v16
	v_sub_f32_e32 v10, v50, v56
	v_mov_b32_e32 v35, v34
	v_fmac_f32_e32 v32, 0x3e9e377a, v14
	v_fmac_f32_e32 v6, 0x3e9e377a, v14
	;; [unrolled: 1-line block ×3, first 2 shown]
	v_sub_f32_e32 v12, v52, v54
	v_sub_f32_e32 v14, v11, v13
	;; [unrolled: 1-line block ×3, first 2 shown]
	v_fmac_f32_e32 v34, 0xbf737871, v10
	v_fmac_f32_e32 v35, 0x3f167918, v12
	v_add_f32_e32 v14, v14, v16
	v_fmac_f32_e32 v34, 0xbf167918, v12
	v_fmac_f32_e32 v35, 0x3e9e377a, v14
	;; [unrolled: 1-line block ×3, first 2 shown]
	v_add_f32_e32 v14, v11, v17
	v_fmac_f32_e32 v26, -0.5, v14
	v_mov_b32_e32 v36, v26
	v_fmac_f32_e32 v36, 0xbf737871, v12
	v_sub_f32_e32 v11, v13, v11
	v_sub_f32_e32 v13, v15, v17
	v_fmac_f32_e32 v36, 0x3f167918, v10
	v_add_f32_e32 v11, v11, v13
	v_fmac_f32_e32 v26, 0x3f737871, v12
	v_fmac_f32_e32 v36, 0x3e9e377a, v11
	;; [unrolled: 1-line block ×4, first 2 shown]
	v_mul_f32_e32 v38, 0xbf737871, v36
	v_mul_f32_e32 v36, 0x3e9e377a, v36
	v_fmac_f32_e32 v38, 0x3e9e377a, v32
	v_mul_f32_e32 v39, 0xbf737871, v26
	v_fmac_f32_e32 v36, 0x3f737871, v32
	v_mul_f32_e32 v32, 0xbe9e377a, v26
	v_fmac_f32_e32 v39, 0xbe9e377a, v6
	v_fmac_f32_e32 v32, 0x3f737871, v6
	v_mul_f32_e32 v6, 0xbf4f1bbd, v34
	v_mul_f32_e32 v40, 0xbf167918, v34
	v_fmac_f32_e32 v6, 0x3f167918, v19
	v_mul_f32_e32 v37, 0xbf167918, v35
	v_fmac_f32_e32 v40, 0xbf4f1bbd, v19
	v_mul_f32_e32 v35, 0x3f4f1bbd, v35
	v_add_f32_e32 v19, v29, v6
	v_sub_f32_e32 v29, v29, v6
	v_mov_b32_e32 v6, 0x410
	v_fmac_f32_e32 v35, 0x3f167918, v22
	v_cndmask_b32_e64 v6, 0, v6, s[0:1]
	v_fmac_f32_e32 v37, 0x3f4f1bbd, v22
	v_add_f32_e32 v16, v23, v39
	v_add_f32_e32 v13, v30, v35
	v_sub_f32_e32 v26, v23, v39
	v_sub_f32_e32 v23, v30, v35
	v_add_u32_e32 v6, 0, v6
	v_lshlrev_b32_e32 v30, 3, v48
	v_add_f32_e32 v10, v27, v20
	v_add_f32_e32 v12, v24, v37
	;; [unrolled: 1-line block ×3, first 2 shown]
	v_add3_u32 v0, v6, v30, v0
	v_add_f32_e32 v14, v25, v38
	v_add_f32_e32 v18, v28, v40
	;; [unrolled: 1-line block ×4, first 2 shown]
	v_sub_f32_e32 v20, v27, v20
	v_sub_f32_e32 v22, v24, v37
	;; [unrolled: 1-line block ×7, first 2 shown]
	ds_write2_b64 v0, v[10:11], v[12:13] offset1:13
	ds_write2_b64 v0, v[14:15], v[16:17] offset0:26 offset1:39
	ds_write2_b64 v0, v[18:19], v[20:21] offset0:52 offset1:65
	ds_write2_b64 v0, v[22:23], v[24:25] offset0:78 offset1:91
	ds_write2_b64 v0, v[26:27], v[28:29] offset0:104 offset1:117
	s_waitcnt lgkmcnt(0)
	; wave barrier
	s_waitcnt lgkmcnt(0)
	s_and_saveexec_b64 s[0:1], vcc
	s_cbranch_execz .LBB0_15
; %bb.14:
	v_mov_b32_e32 v6, v7
	v_lshlrev_b64 v[18:19], 3, v[5:6]
	v_mov_b32_e32 v0, s13
	v_add_co_u32_e32 v10, vcc, s12, v18
	v_addc_co_u32_e32 v11, vcc, v0, v19, vcc
	global_load_dwordx2 v[20:21], v[10:11], off offset:1768
	global_load_dwordx2 v[22:23], v[10:11], off offset:1560
	;; [unrolled: 1-line block ×5, first 2 shown]
	v_mul_lo_u32 v6, s3, v3
	v_mul_lo_u32 v42, s2, v4
	v_mad_u64_u32 v[3:4], s[0:1], s2, v3, 0
	v_lshlrev_b64 v[0:1], 3, v[1:2]
	ds_read_b64 v[30:31], v9 offset:1872
	ds_read_b32 v43, v9 offset:836
	ds_read_b64 v[32:33], v9 offset:832
	ds_read2_b64 v[10:13], v9 offset0:182 offset1:208
	ds_read_b32 v44, v9 offset:628
	ds_read_b64 v[34:35], v9 offset:624
	ds_read_b32 v45, v9 offset:420
	ds_read_b64 v[36:37], v9 offset:416
	ds_read_b32 v46, v9 offset:212
	ds_read2_b64 v[14:17], v9 offset0:130 offset1:156
	ds_read_b64 v[38:39], v8
	ds_read_b64 v[40:41], v9 offset:208
	ds_read_b32 v47, v8 offset:4
	v_add3_u32 v4, v4, v42, v6
	v_lshlrev_b64 v[2:3], 3, v[3:4]
	v_mov_b32_e32 v8, s11
	v_add_co_u32_e32 v2, vcc, s10, v2
	v_addc_co_u32_e32 v3, vcc, v8, v3, vcc
	v_add_co_u32_e32 v0, vcc, v2, v0
	v_add_u32_e32 v48, 0x68, v5
	s_mov_b32 s0, 0xfc0fc0fd
	v_addc_co_u32_e32 v1, vcc, v3, v1, vcc
	v_add_co_u32_e32 v0, vcc, v0, v18
	v_addc_co_u32_e32 v1, vcc, v1, v19, vcc
	s_waitcnt vmcnt(4) lgkmcnt(12)
	v_mul_f32_e32 v2, v21, v30
	v_mul_f32_e32 v4, v21, v31
	s_waitcnt vmcnt(3) lgkmcnt(9)
	v_mul_f32_e32 v6, v23, v13
	v_mul_f32_e32 v3, v23, v12
	v_fma_f32 v2, v20, v31, -v2
	v_fmac_f32_e32 v4, v20, v30
	v_fmac_f32_e32 v6, v22, v12
	v_fma_f32 v13, v22, v13, -v3
	v_sub_f32_e32 v3, v33, v2
	v_sub_f32_e32 v2, v32, v4
	s_waitcnt lgkmcnt(7)
	v_sub_f32_e32 v4, v34, v6
	v_mul_hi_u32 v6, v48, s0
	s_movk_i32 s0, 0x82
	s_waitcnt vmcnt(2)
	v_mul_f32_e32 v5, v25, v10
	v_mul_f32_e32 v8, v25, v11
	v_lshrrev_b32_e32 v6, 7, v6
	s_waitcnt vmcnt(1) lgkmcnt(3)
	v_mul_f32_e32 v9, v27, v16
	v_mul_f32_e32 v18, v27, v17
	v_mul_lo_u32 v6, v6, s0
	s_waitcnt vmcnt(0)
	v_mul_f32_e32 v19, v29, v14
	v_mul_f32_e32 v21, v29, v15
	v_fma_f32 v11, v24, v11, -v5
	v_fmac_f32_e32 v8, v24, v10
	v_fma_f32 v10, v26, v17, -v9
	v_fmac_f32_e32 v18, v26, v16
	;; [unrolled: 2-line block ×3, first 2 shown]
	v_sub_f32_e32 v9, v37, v11
	s_waitcnt lgkmcnt(1)
	v_sub_f32_e32 v11, v41, v10
	v_sub_f32_e32 v10, v40, v18
	;; [unrolled: 1-line block ×6, first 2 shown]
	v_fma_f32 v21, v46, 2.0, -v11
	v_fma_f32 v20, v40, 2.0, -v10
	;; [unrolled: 1-line block ×6, first 2 shown]
	s_waitcnt lgkmcnt(0)
	v_fma_f32 v23, v47, 2.0, -v13
	v_fma_f32 v22, v38, 2.0, -v12
	global_store_dwordx2 v[0:1], v[12:13], off offset:1040
	global_store_dwordx2 v[0:1], v[22:23], off
	global_store_dwordx2 v[0:1], v[20:21], off offset:208
	global_store_dwordx2 v[0:1], v[10:11], off offset:1248
	;; [unrolled: 1-line block ×6, first 2 shown]
	v_lshlrev_b64 v[4:5], 3, v[6:7]
	v_fma_f32 v15, v43, 2.0, -v3
	v_add_co_u32_e32 v0, vcc, v0, v4
	v_fma_f32 v14, v32, 2.0, -v2
	v_addc_co_u32_e32 v1, vcc, v1, v5, vcc
	global_store_dwordx2 v[0:1], v[14:15], off offset:832
	global_store_dwordx2 v[0:1], v[2:3], off offset:1872
.LBB0_15:
	s_endpgm
	.section	.rodata,"a",@progbits
	.p2align	6, 0x0
	.amdhsa_kernel fft_rtc_back_len260_factors_13_10_2_wgs_52_tpt_26_sp_op_CI_CI_unitstride_sbrr_dirReg
		.amdhsa_group_segment_fixed_size 0
		.amdhsa_private_segment_fixed_size 0
		.amdhsa_kernarg_size 104
		.amdhsa_user_sgpr_count 6
		.amdhsa_user_sgpr_private_segment_buffer 1
		.amdhsa_user_sgpr_dispatch_ptr 0
		.amdhsa_user_sgpr_queue_ptr 0
		.amdhsa_user_sgpr_kernarg_segment_ptr 1
		.amdhsa_user_sgpr_dispatch_id 0
		.amdhsa_user_sgpr_flat_scratch_init 0
		.amdhsa_user_sgpr_private_segment_size 0
		.amdhsa_uses_dynamic_stack 0
		.amdhsa_system_sgpr_private_segment_wavefront_offset 0
		.amdhsa_system_sgpr_workgroup_id_x 1
		.amdhsa_system_sgpr_workgroup_id_y 0
		.amdhsa_system_sgpr_workgroup_id_z 0
		.amdhsa_system_sgpr_workgroup_info 0
		.amdhsa_system_vgpr_workitem_id 0
		.amdhsa_next_free_vgpr 114
		.amdhsa_next_free_sgpr 28
		.amdhsa_reserve_vcc 1
		.amdhsa_reserve_flat_scratch 0
		.amdhsa_float_round_mode_32 0
		.amdhsa_float_round_mode_16_64 0
		.amdhsa_float_denorm_mode_32 3
		.amdhsa_float_denorm_mode_16_64 3
		.amdhsa_dx10_clamp 1
		.amdhsa_ieee_mode 1
		.amdhsa_fp16_overflow 0
		.amdhsa_exception_fp_ieee_invalid_op 0
		.amdhsa_exception_fp_denorm_src 0
		.amdhsa_exception_fp_ieee_div_zero 0
		.amdhsa_exception_fp_ieee_overflow 0
		.amdhsa_exception_fp_ieee_underflow 0
		.amdhsa_exception_fp_ieee_inexact 0
		.amdhsa_exception_int_div_zero 0
	.end_amdhsa_kernel
	.text
.Lfunc_end0:
	.size	fft_rtc_back_len260_factors_13_10_2_wgs_52_tpt_26_sp_op_CI_CI_unitstride_sbrr_dirReg, .Lfunc_end0-fft_rtc_back_len260_factors_13_10_2_wgs_52_tpt_26_sp_op_CI_CI_unitstride_sbrr_dirReg
                                        ; -- End function
	.section	.AMDGPU.csdata,"",@progbits
; Kernel info:
; codeLenInByte = 6288
; NumSgprs: 32
; NumVgprs: 114
; ScratchSize: 0
; MemoryBound: 0
; FloatMode: 240
; IeeeMode: 1
; LDSByteSize: 0 bytes/workgroup (compile time only)
; SGPRBlocks: 3
; VGPRBlocks: 28
; NumSGPRsForWavesPerEU: 32
; NumVGPRsForWavesPerEU: 114
; Occupancy: 2
; WaveLimiterHint : 1
; COMPUTE_PGM_RSRC2:SCRATCH_EN: 0
; COMPUTE_PGM_RSRC2:USER_SGPR: 6
; COMPUTE_PGM_RSRC2:TRAP_HANDLER: 0
; COMPUTE_PGM_RSRC2:TGID_X_EN: 1
; COMPUTE_PGM_RSRC2:TGID_Y_EN: 0
; COMPUTE_PGM_RSRC2:TGID_Z_EN: 0
; COMPUTE_PGM_RSRC2:TIDIG_COMP_CNT: 0
	.type	__hip_cuid_37b36405310be354,@object ; @__hip_cuid_37b36405310be354
	.section	.bss,"aw",@nobits
	.globl	__hip_cuid_37b36405310be354
__hip_cuid_37b36405310be354:
	.byte	0                               ; 0x0
	.size	__hip_cuid_37b36405310be354, 1

	.ident	"AMD clang version 19.0.0git (https://github.com/RadeonOpenCompute/llvm-project roc-6.4.0 25133 c7fe45cf4b819c5991fe208aaa96edf142730f1d)"
	.section	".note.GNU-stack","",@progbits
	.addrsig
	.addrsig_sym __hip_cuid_37b36405310be354
	.amdgpu_metadata
---
amdhsa.kernels:
  - .args:
      - .actual_access:  read_only
        .address_space:  global
        .offset:         0
        .size:           8
        .value_kind:     global_buffer
      - .offset:         8
        .size:           8
        .value_kind:     by_value
      - .actual_access:  read_only
        .address_space:  global
        .offset:         16
        .size:           8
        .value_kind:     global_buffer
      - .actual_access:  read_only
        .address_space:  global
        .offset:         24
        .size:           8
        .value_kind:     global_buffer
      - .actual_access:  read_only
        .address_space:  global
        .offset:         32
        .size:           8
        .value_kind:     global_buffer
      - .offset:         40
        .size:           8
        .value_kind:     by_value
      - .actual_access:  read_only
        .address_space:  global
        .offset:         48
        .size:           8
        .value_kind:     global_buffer
      - .actual_access:  read_only
        .address_space:  global
        .offset:         56
        .size:           8
        .value_kind:     global_buffer
      - .offset:         64
        .size:           4
        .value_kind:     by_value
      - .actual_access:  read_only
        .address_space:  global
        .offset:         72
        .size:           8
        .value_kind:     global_buffer
      - .actual_access:  read_only
        .address_space:  global
        .offset:         80
        .size:           8
        .value_kind:     global_buffer
      - .actual_access:  read_only
        .address_space:  global
        .offset:         88
        .size:           8
        .value_kind:     global_buffer
      - .actual_access:  write_only
        .address_space:  global
        .offset:         96
        .size:           8
        .value_kind:     global_buffer
    .group_segment_fixed_size: 0
    .kernarg_segment_align: 8
    .kernarg_segment_size: 104
    .language:       OpenCL C
    .language_version:
      - 2
      - 0
    .max_flat_workgroup_size: 52
    .name:           fft_rtc_back_len260_factors_13_10_2_wgs_52_tpt_26_sp_op_CI_CI_unitstride_sbrr_dirReg
    .private_segment_fixed_size: 0
    .sgpr_count:     32
    .sgpr_spill_count: 0
    .symbol:         fft_rtc_back_len260_factors_13_10_2_wgs_52_tpt_26_sp_op_CI_CI_unitstride_sbrr_dirReg.kd
    .uniform_work_group_size: 1
    .uses_dynamic_stack: false
    .vgpr_count:     114
    .vgpr_spill_count: 0
    .wavefront_size: 64
amdhsa.target:   amdgcn-amd-amdhsa--gfx906
amdhsa.version:
  - 1
  - 2
...

	.end_amdgpu_metadata
